;; amdgpu-corpus repo=ROCm/rocFFT kind=compiled arch=gfx906 opt=O3
	.text
	.amdgcn_target "amdgcn-amd-amdhsa--gfx906"
	.amdhsa_code_object_version 6
	.protected	fft_rtc_fwd_len512_factors_8_8_8_wgs_512_tpt_128_sp_op_CI_CI_sbrc_erc_z_xy_unaligned ; -- Begin function fft_rtc_fwd_len512_factors_8_8_8_wgs_512_tpt_128_sp_op_CI_CI_sbrc_erc_z_xy_unaligned
	.globl	fft_rtc_fwd_len512_factors_8_8_8_wgs_512_tpt_128_sp_op_CI_CI_sbrc_erc_z_xy_unaligned
	.p2align	8
	.type	fft_rtc_fwd_len512_factors_8_8_8_wgs_512_tpt_128_sp_op_CI_CI_sbrc_erc_z_xy_unaligned,@function
fft_rtc_fwd_len512_factors_8_8_8_wgs_512_tpt_128_sp_op_CI_CI_sbrc_erc_z_xy_unaligned: ; @fft_rtc_fwd_len512_factors_8_8_8_wgs_512_tpt_128_sp_op_CI_CI_sbrc_erc_z_xy_unaligned
; %bb.0:
	s_load_dwordx8 s[8:15], s[4:5], 0x8
	s_mov_b64 s[26:27], -1
	s_waitcnt lgkmcnt(0)
	s_load_dwordx4 s[0:3], s[10:11], 0x8
	s_load_dwordx4 s[16:19], s[12:13], 0x0
	s_load_dword s7, s[12:13], 0x10
	s_waitcnt lgkmcnt(0)
	s_add_i32 s1, s0, -1
	s_lshr_b32 s1, s1, 2
	s_add_i32 s3, s1, 1
	s_mul_i32 s2, s3, s2
	v_cvt_f32_u32_e32 v2, s2
	v_cvt_f32_u32_e32 v1, s3
	s_sub_i32 s10, 0, s2
	v_rcp_iflag_f32_e32 v2, v2
	v_rcp_iflag_f32_e32 v1, v1
	v_mul_f32_e32 v2, 0x4f7ffffe, v2
	v_cvt_u32_f32_e32 v2, v2
	v_mul_f32_e32 v1, 0x4f7ffffe, v1
	v_cvt_u32_f32_e32 v1, v1
	v_readfirstlane_b32 s19, v2
	s_mul_i32 s10, s10, s19
	s_mul_hi_u32 s10, s19, s10
	s_add_i32 s19, s19, s10
	s_mul_hi_u32 s10, s6, s19
	s_mul_i32 s19, s10, s2
	s_sub_i32 s19, s6, s19
	s_add_i32 s20, s10, 1
	s_sub_i32 s21, s19, s2
	s_cmp_ge_u32 s19, s2
	s_cselect_b32 s10, s20, s10
	s_cselect_b32 s19, s21, s19
	s_add_i32 s20, s10, 1
	s_cmp_ge_u32 s19, s2
	v_readfirstlane_b32 s11, v1
	s_cselect_b32 s28, s20, s10
	s_not_b32 s1, s1
	s_mul_i32 s1, s1, s11
	s_mul_i32 s2, s28, s2
	s_mul_hi_u32 s1, s11, s1
	s_sub_i32 s2, s6, s2
	s_add_i32 s11, s11, s1
	s_mul_hi_u32 s1, s2, s11
	s_mul_i32 s10, s1, s3
	s_sub_i32 s2, s2, s10
	s_add_i32 s19, s1, 1
	s_sub_i32 s10, s2, s3
	s_cmp_ge_u32 s2, s3
	s_cselect_b32 s1, s19, s1
	s_cselect_b32 s2, s10, s2
	s_add_i32 s10, s1, 1
	s_cmp_ge_u32 s2, s3
	s_cselect_b32 s29, s10, s1
	s_mul_hi_u32 s1, s6, s11
	s_mul_i32 s1, s1, s3
	s_sub_i32 s1, s6, s1
	s_sub_i32 s2, s1, s3
	s_cmp_ge_u32 s1, s3
	s_cselect_b32 s1, s2, s1
	s_sub_i32 s2, s1, s3
	s_cmp_ge_u32 s1, s3
	s_cselect_b32 s1, s2, s1
	s_lshl_b32 s1, s1, 2
	s_mul_i32 s2, s29, s7
	s_mul_i32 s3, s1, s18
	s_add_i32 s10, s3, s2
	s_lshl_b64 s[2:3], s[8:9], 3
	s_add_u32 s6, s12, s2
	s_addc_u32 s7, s13, s3
	s_load_dwordx2 s[8:9], s[6:7], 0x0
	s_load_dwordx2 s[20:21], s[4:5], 0x58
	s_waitcnt lgkmcnt(0)
	s_mul_i32 s6, s9, s28
	s_mul_hi_u32 s7, s8, s28
	s_add_i32 s7, s7, s6
	s_mul_i32 s6, s8, s28
	s_add_u32 s22, s6, s10
	s_addc_u32 s23, s7, 0
	s_add_u32 s24, s14, s2
	s_addc_u32 s25, s15, s3
	s_add_i32 s2, s1, 4
	s_cmp_le_u32 s2, s0
	s_cselect_b64 s[6:7], -1, 0
	s_and_b64 vcc, exec, s[6:7]
	s_cbranch_vccz .LBB0_2
; %bb.1:
	v_mad_u64_u32 v[1:2], s[2:3], s16, v0, 0
	s_lshl_b64 s[2:3], s[22:23], 3
	s_add_u32 s2, s20, s2
	v_mad_u64_u32 v[2:3], s[8:9], s17, v0, v[2:3]
	s_addc_u32 s3, s21, s3
	v_mov_b32_e32 v3, s3
	v_lshlrev_b64 v[1:2], 3, v[1:2]
	s_mov_b32 s19, 0
	v_add_co_u32_e32 v1, vcc, s2, v1
	v_addc_co_u32_e32 v2, vcc, v3, v2, vcc
	s_lshl_b64 s[2:3], s[18:19], 3
	v_mov_b32_e32 v4, s3
	v_add_co_u32_e32 v3, vcc, s2, v1
	s_add_i32 s2, s18, s18
	s_mov_b32 s3, s19
	v_addc_co_u32_e32 v4, vcc, v2, v4, vcc
	s_lshl_b64 s[8:9], s[2:3], 3
	v_mov_b32_e32 v6, s9
	v_add_co_u32_e32 v5, vcc, s8, v1
	s_add_i32 s2, s2, s18
	v_addc_co_u32_e32 v6, vcc, v2, v6, vcc
	s_lshl_b64 s[2:3], s[2:3], 3
	v_mov_b32_e32 v8, s3
	v_add_co_u32_e32 v7, vcc, s2, v1
	v_addc_co_u32_e32 v8, vcc, v2, v8, vcc
	global_load_dwordx2 v[9:10], v[1:2], off
	global_load_dwordx2 v[11:12], v[3:4], off
	;; [unrolled: 1-line block ×4, first 2 shown]
	v_lshl_add_u32 v1, v0, 3, 0
	s_mov_b64 s[26:27], 0
	s_waitcnt vmcnt(3)
	ds_write_b64 v1, v[9:10]
	s_waitcnt vmcnt(2)
	ds_write_b64 v1, v[11:12] offset:4104
	s_waitcnt vmcnt(1)
	ds_write_b64 v1, v[13:14] offset:8208
	;; [unrolled: 2-line block ×3, first 2 shown]
.LBB0_2:
	s_load_dwordx2 s[2:3], s[14:15], 0x10
	s_load_dwordx4 s[8:11], s[14:15], 0x0
	s_load_dwordx2 s[12:13], s[24:25], 0x0
	s_andn2_b64 vcc, exec, s[26:27]
	s_cbranch_vccnz .LBB0_7
; %bb.3:
	s_cmp_lt_u32 s1, s0
	s_cselect_b64 s[24:25], -1, 0
	s_and_saveexec_b64 s[14:15], s[24:25]
	s_cbranch_execz .LBB0_6
; %bb.4:
	v_mad_u64_u32 v[1:2], s[24:25], s16, v0, 0
	v_mov_b32_e32 v3, s1
	v_lshl_add_u32 v6, v0, 3, 0
	v_mad_u64_u32 v[4:5], s[16:17], s17, v0, v[2:3]
	s_lshl_b64 s[16:17], s[22:23], 3
	s_waitcnt lgkmcnt(0)
	s_add_u32 s3, s20, s16
	v_mov_b32_e32 v2, v4
	v_lshlrev_b64 v[1:2], 3, v[1:2]
	s_addc_u32 s11, s21, s17
	v_mov_b32_e32 v5, s11
	v_add_co_u32_e32 v4, vcc, s3, v1
	v_addc_co_u32_e32 v5, vcc, v5, v2, vcc
	v_mov_b32_e32 v2, 0
	s_mov_b64 s[16:17], 0
	v_mov_b32_e32 v1, v2
.LBB0_5:                                ; =>This Inner Loop Header: Depth=1
	v_lshlrev_b64 v[7:8], 3, v[1:2]
	v_add_u32_e32 v3, 1, v3
	v_add_co_u32_e32 v7, vcc, v4, v7
	v_addc_co_u32_e32 v8, vcc, v5, v8, vcc
	global_load_dwordx2 v[7:8], v[7:8], off
	v_cmp_le_u32_e32 vcc, s0, v3
	v_add_u32_e32 v1, s18, v1
	s_or_b64 s[16:17], vcc, s[16:17]
	s_waitcnt vmcnt(0)
	ds_write_b64 v6, v[7:8]
	v_add_u32_e32 v6, 0x1008, v6
	s_andn2_b64 exec, exec, s[16:17]
	s_cbranch_execnz .LBB0_5
.LBB0_6:
	s_or_b64 exec, exec, s[14:15]
.LBB0_7:
	v_lshrrev_b32_e32 v1, 7, v0
	v_and_b32_e32 v20, 0x7f, v0
	v_mul_u32_u24_e32 v1, 0x201, v1
	v_lshlrev_b32_e32 v15, 3, v20
	v_lshlrev_b32_e32 v19, 3, v1
	v_add_u32_e32 v21, 0, v15
	v_add_u32_e32 v17, v21, v19
	s_waitcnt lgkmcnt(0)
	s_barrier
	ds_read2st64_b64 v[1:4], v17 offset0:5 offset1:6
	ds_read2st64_b64 v[5:8], v17 offset0:1 offset1:2
	;; [unrolled: 1-line block ×3, first 2 shown]
	ds_read_b64 v[13:14], v17 offset:3584
	v_add3_u32 v18, 0, v19, v15
	s_load_dwordx2 s[14:15], s[4:5], 0x0
	s_waitcnt lgkmcnt(0)
	v_sub_f32_e32 v16, v5, v1
	v_sub_f32_e32 v22, v6, v2
	ds_read_b64 v[1:2], v18
	v_sub_f32_e32 v3, v7, v3
	v_sub_f32_e32 v4, v8, v4
	;; [unrolled: 1-line block ×4, first 2 shown]
	s_waitcnt lgkmcnt(0)
	v_sub_f32_e32 v11, v1, v11
	v_sub_f32_e32 v12, v2, v12
	v_fma_f32 v7, v7, 2.0, -v3
	v_fma_f32 v8, v8, 2.0, -v4
	;; [unrolled: 1-line block ×8, first 2 shown]
	v_sub_f32_e32 v23, v1, v7
	v_sub_f32_e32 v24, v2, v8
	;; [unrolled: 1-line block ×5, first 2 shown]
	v_add_f32_e32 v26, v12, v3
	v_fma_f32 v1, v1, 2.0, -v23
	v_fma_f32 v2, v2, 2.0, -v24
	;; [unrolled: 1-line block ×6, first 2 shown]
	v_sub_f32_e32 v11, v16, v14
	v_add_f32_e32 v12, v22, v13
	v_sub_f32_e32 v9, v1, v5
	v_sub_f32_e32 v10, v2, v6
	v_fma_f32 v13, v16, 2.0, -v11
	v_fma_f32 v14, v22, 2.0, -v12
	v_mov_b32_e32 v5, v3
	v_mov_b32_e32 v6, v4
	v_fmac_f32_e32 v5, 0xbf3504f3, v13
	v_fmac_f32_e32 v6, 0xbf3504f3, v14
	;; [unrolled: 1-line block ×4, first 2 shown]
	v_fma_f32 v15, v3, 2.0, -v5
	v_fma_f32 v16, v4, 2.0, -v6
	v_mov_b32_e32 v3, v25
	v_mov_b32_e32 v4, v26
	v_fmac_f32_e32 v3, 0x3f3504f3, v11
	v_fmac_f32_e32 v4, 0x3f3504f3, v12
	v_sub_f32_e32 v7, v23, v7
	v_add_f32_e32 v8, v24, v8
	v_fmac_f32_e32 v3, 0xbf3504f3, v12
	v_fmac_f32_e32 v4, 0x3f3504f3, v11
	v_fma_f32 v1, v1, 2.0, -v9
	v_fma_f32 v2, v2, 2.0, -v10
	;; [unrolled: 1-line block ×6, first 2 shown]
	v_cmp_gt_u32_e32 vcc, 64, v20
	s_barrier
	s_and_saveexec_b64 s[16:17], vcc
	s_cbranch_execz .LBB0_9
; %bb.8:
	v_mul_u32_u24_e32 v20, 56, v20
	v_add3_u32 v20, v21, v20, v19
	ds_write2_b64 v20, v[1:2], v[15:16] offset1:1
	ds_write2_b64 v20, v[13:14], v[11:12] offset0:2 offset1:3
	ds_write2_b64 v20, v[9:10], v[5:6] offset0:4 offset1:5
	;; [unrolled: 1-line block ×3, first 2 shown]
.LBB0_9:
	s_or_b64 exec, exec, s[16:17]
	s_waitcnt lgkmcnt(0)
	s_barrier
	s_and_saveexec_b64 s[16:17], vcc
	s_cbranch_execz .LBB0_11
; %bb.10:
	ds_read2st64_b64 v[5:8], v17 offset0:5 offset1:6
	ds_read2st64_b64 v[20:23], v17 offset0:1 offset1:2
	;; [unrolled: 1-line block ×3, first 2 shown]
	ds_read_b64 v[3:4], v17 offset:3584
	ds_read_b64 v[1:2], v18
	s_waitcnt lgkmcnt(3)
	v_mov_b32_e32 v16, v21
	s_waitcnt lgkmcnt(2)
	v_mov_b32_e32 v10, v14
	v_mov_b32_e32 v9, v13
	;; [unrolled: 1-line block ×5, first 2 shown]
.LBB0_11:
	s_or_b64 exec, exec, s[16:17]
	v_and_b32_e32 v20, 7, v0
	v_mul_u32_u24_e32 v21, 7, v20
	v_lshlrev_b32_e32 v29, 3, v21
	global_load_dwordx4 v[21:24], v29, s[14:15]
	global_load_dwordx4 v[25:28], v29, s[14:15] offset:16
	s_waitcnt vmcnt(1)
	v_mul_f32_e32 v30, v16, v22
	v_fma_f32 v30, v15, v21, -v30
	v_mul_f32_e32 v15, v15, v22
	v_fmac_f32_e32 v15, v16, v21
	v_mul_f32_e32 v16, v14, v24
	v_mul_f32_e32 v21, v13, v24
	v_fma_f32 v16, v13, v23, -v16
	v_fmac_f32_e32 v21, v14, v23
	s_waitcnt vmcnt(0)
	v_mul_f32_e32 v13, v12, v26
	v_mul_f32_e32 v23, v11, v26
	v_fma_f32 v22, v11, v25, -v13
	v_fmac_f32_e32 v23, v12, v25
	v_mul_f32_e32 v11, v10, v28
	v_mul_f32_e32 v25, v9, v28
	v_fma_f32 v24, v9, v27, -v11
	v_fmac_f32_e32 v25, v10, v27
	global_load_dwordx4 v[9:12], v29, s[14:15] offset:32
	global_load_dwordx2 v[13:14], v29, s[14:15] offset:48
	s_waitcnt vmcnt(0) lgkmcnt(0)
	s_barrier
	v_mul_f32_e32 v26, v6, v10
	v_fma_f32 v26, v5, v9, -v26
	v_mul_f32_e32 v5, v5, v10
	v_fmac_f32_e32 v5, v6, v9
	v_mul_f32_e32 v6, v8, v12
	v_fma_f32 v6, v7, v11, -v6
	v_mul_f32_e32 v7, v7, v12
	v_fmac_f32_e32 v7, v8, v11
	v_mul_f32_e32 v8, v4, v14
	v_mul_f32_e32 v9, v3, v14
	v_fma_f32 v3, v3, v13, -v8
	v_fmac_f32_e32 v9, v4, v13
	v_sub_f32_e32 v10, v1, v24
	v_sub_f32_e32 v24, v2, v25
	;; [unrolled: 1-line block ×8, first 2 shown]
	v_fma_f32 v1, v1, 2.0, -v10
	v_fma_f32 v2, v2, 2.0, -v24
	;; [unrolled: 1-line block ×8, first 2 shown]
	v_sub_f32_e32 v15, v1, v3
	v_sub_f32_e32 v16, v2, v4
	;; [unrolled: 1-line block ×4, first 2 shown]
	v_fma_f32 v7, v7, 2.0, -v4
	v_fma_f32 v8, v8, 2.0, -v3
	v_sub_f32_e32 v3, v15, v3
	v_fma_f32 v1, v1, 2.0, -v15
	v_sub_f32_e32 v21, v10, v13
	v_add_f32_e32 v4, v16, v4
	v_fma_f32 v2, v2, 2.0, -v16
	v_sub_f32_e32 v11, v1, v7
	v_fma_f32 v7, v15, 2.0, -v3
	v_add_f32_e32 v6, v24, v6
	v_sub_f32_e32 v9, v14, v9
	v_mov_b32_e32 v15, v21
	v_sub_f32_e32 v12, v2, v8
	v_fma_f32 v8, v16, 2.0, -v4
	v_add_f32_e32 v13, v5, v25
	v_mov_b32_e32 v16, v6
	v_fmac_f32_e32 v15, 0x3f3504f3, v9
	v_fma_f32 v23, v10, 2.0, -v21
	v_fma_f32 v24, v24, 2.0, -v6
	;; [unrolled: 1-line block ×3, first 2 shown]
	v_fmac_f32_e32 v16, 0x3f3504f3, v13
	v_fmac_f32_e32 v15, 0xbf3504f3, v13
	v_fma_f32 v22, v14, 2.0, -v9
	v_fma_f32 v13, v1, 2.0, -v11
	;; [unrolled: 1-line block ×3, first 2 shown]
	v_mov_b32_e32 v1, v23
	v_mov_b32_e32 v2, v24
	v_fmac_f32_e32 v1, 0xbf3504f3, v22
	v_fmac_f32_e32 v2, 0xbf3504f3, v5
	;; [unrolled: 1-line block ×5, first 2 shown]
	v_fma_f32 v9, v21, 2.0, -v15
	v_fma_f32 v10, v6, 2.0, -v16
	;; [unrolled: 1-line block ×4, first 2 shown]
	s_and_saveexec_b64 s[16:17], vcc
	s_cbranch_execz .LBB0_13
; %bb.12:
	v_lshlrev_b32_e32 v21, 3, v0
	s_movk_i32 s3, 0x1c0
	v_and_or_b32 v20, v21, s3, v20
	v_lshlrev_b32_e32 v20, 3, v20
	v_add3_u32 v19, 0, v20, v19
	ds_write2_b64 v19, v[13:14], v[5:6] offset1:8
	ds_write2_b64 v19, v[7:8], v[9:10] offset0:16 offset1:24
	ds_write2_b64 v19, v[11:12], v[1:2] offset0:32 offset1:40
	;; [unrolled: 1-line block ×3, first 2 shown]
.LBB0_13:
	s_or_b64 exec, exec, s[16:17]
	s_waitcnt lgkmcnt(0)
	s_barrier
	s_and_saveexec_b64 s[16:17], vcc
	s_cbranch_execz .LBB0_15
; %bb.14:
	ds_read_b64 v[13:14], v18
	ds_read2st64_b64 v[5:8], v17 offset0:1 offset1:2
	ds_read2st64_b64 v[9:12], v17 offset0:3 offset1:4
	;; [unrolled: 1-line block ×3, first 2 shown]
	ds_read_b64 v[15:16], v17 offset:3584
.LBB0_15:
	s_or_b64 exec, exec, s[16:17]
	s_load_dwordx2 s[4:5], s[4:5], 0x60
	s_waitcnt lgkmcnt(0)
	s_barrier
	s_and_saveexec_b64 s[16:17], vcc
	s_cbranch_execz .LBB0_17
; %bb.16:
	v_and_b32_e32 v19, 63, v0
	v_mul_u32_u24_e32 v19, 7, v19
	v_lshlrev_b32_e32 v27, 3, v19
	global_load_dwordx4 v[19:22], v27, s[14:15] offset:464
	global_load_dwordx4 v[23:26], v27, s[14:15] offset:448
	s_waitcnt vmcnt(1)
	v_mul_f32_e32 v29, v9, v20
	v_fmac_f32_e32 v29, v10, v19
	v_mul_f32_e32 v10, v10, v20
	v_mul_f32_e32 v28, v11, v22
	v_fma_f32 v19, v9, v19, -v10
	v_mul_f32_e32 v9, v12, v22
	v_fmac_f32_e32 v28, v12, v21
	v_fma_f32 v11, v11, v21, -v9
	s_waitcnt vmcnt(0)
	v_mul_f32_e32 v9, v8, v26
	v_mul_f32_e32 v10, v6, v24
	;; [unrolled: 1-line block ×4, first 2 shown]
	v_fma_f32 v21, v7, v25, -v9
	v_fma_f32 v22, v5, v23, -v10
	v_fmac_f32_e32 v12, v6, v23
	v_fmac_f32_e32 v20, v8, v25
	global_load_dwordx4 v[5:8], v27, s[14:15] offset:480
	global_load_dwordx2 v[9:10], v27, s[14:15] offset:496
	s_waitcnt vmcnt(1)
	v_mul_f32_e32 v24, v2, v6
	v_mul_f32_e32 v6, v1, v6
	;; [unrolled: 1-line block ×3, first 2 shown]
	v_fmac_f32_e32 v6, v2, v5
	v_mul_f32_e32 v2, v3, v8
	v_fma_f32 v23, v3, v7, -v23
	v_fmac_f32_e32 v2, v4, v7
	s_waitcnt vmcnt(0)
	v_mul_f32_e32 v3, v15, v10
	v_mul_f32_e32 v4, v16, v10
	v_fma_f32 v1, v1, v5, -v24
	v_fmac_f32_e32 v3, v16, v9
	v_fma_f32 v4, v15, v9, -v4
	v_sub_f32_e32 v5, v14, v28
	v_sub_f32_e32 v7, v13, v11
	;; [unrolled: 1-line block ×8, first 2 shown]
	v_fma_f32 v6, v14, 2.0, -v5
	v_fma_f32 v10, v13, 2.0, -v7
	;; [unrolled: 1-line block ×8, first 2 shown]
	v_add_f32_e32 v19, v5, v8
	v_sub_f32_e32 v22, v7, v2
	v_sub_f32_e32 v20, v9, v1
	v_add_f32_e32 v21, v4, v3
	v_sub_f32_e32 v11, v6, v11
	v_sub_f32_e32 v3, v13, v14
	v_sub_f32_e32 v14, v10, v15
	v_sub_f32_e32 v8, v12, v16
	v_fma_f32 v16, v5, 2.0, -v19
	v_fma_f32 v24, v7, 2.0, -v22
	;; [unrolled: 1-line block ×8, first 2 shown]
	v_mov_b32_e32 v6, v16
	v_mov_b32_e32 v5, v24
	;; [unrolled: 1-line block ×4, first 2 shown]
	v_add_f32_e32 v4, v11, v3
	v_sub_f32_e32 v3, v14, v8
	v_sub_f32_e32 v8, v12, v7
	;; [unrolled: 1-line block ×3, first 2 shown]
	v_fmac_f32_e32 v6, 0xbf3504f3, v23
	v_fmac_f32_e32 v5, 0xbf3504f3, v15
	;; [unrolled: 1-line block ×4, first 2 shown]
	v_fma_f32 v10, v11, 2.0, -v4
	v_fma_f32 v12, v12, 2.0, -v8
	;; [unrolled: 1-line block ×3, first 2 shown]
	v_fmac_f32_e32 v6, 0x3f3504f3, v15
	v_fmac_f32_e32 v5, 0xbf3504f3, v23
	;; [unrolled: 1-line block ×4, first 2 shown]
	v_fma_f32 v9, v14, 2.0, -v3
	ds_write_b64 v18, v[11:12]
	v_fma_f32 v12, v16, 2.0, -v6
	v_fma_f32 v11, v24, 2.0, -v5
	;; [unrolled: 1-line block ×4, first 2 shown]
	ds_write2st64_b64 v17, v[11:12], v[9:10] offset0:1 offset1:2
	ds_write2st64_b64 v17, v[13:14], v[7:8] offset0:3 offset1:4
	;; [unrolled: 1-line block ×3, first 2 shown]
	ds_write_b64 v17, v[1:2] offset:3584
.LBB0_17:
	s_or_b64 exec, exec, s[16:17]
	s_mul_i32 s29, s29, s10
	s_mul_i32 s3, s9, s1
	s_mul_hi_u32 s10, s8, s1
	s_add_i32 s10, s10, s3
	s_mul_i32 s3, s8, s1
	s_add_u32 s3, s3, s29
	s_addc_u32 s11, s10, 0
	s_mul_i32 s10, s13, s28
	s_mul_hi_u32 s13, s12, s28
	s_add_i32 s13, s13, s10
	s_mul_i32 s10, s12, s28
	s_add_u32 s10, s3, s10
	s_addc_u32 s11, s11, s13
	v_lshrrev_b32_e32 v7, 2, v0
	s_andn2_b64 vcc, exec, s[6:7]
	v_and_b32_e32 v8, 3, v0
	s_waitcnt lgkmcnt(0)
	s_barrier
	s_cbranch_vccnz .LBB0_21
; %bb.18:
	v_mad_u64_u32 v[2:3], s[6:7], s8, v8, 0
	v_mul_lo_u32 v13, v7, s2
	s_movk_i32 s3, 0x1008
	v_mov_b32_e32 v1, v3
	v_mad_u64_u32 v[3:4], s[6:7], s9, v8, v[1:2]
	s_lshl_b64 s[6:7], s[10:11], 3
	v_mad_u32_u24 v1, v8, s3, 0
	s_add_u32 s3, s4, s6
	v_lshlrev_b64 v[2:3], 3, v[2:3]
	v_lshl_add_u32 v4, v7, 3, v1
	s_addc_u32 s6, s5, s7
	v_mov_b32_e32 v14, 0
	ds_read2st64_b64 v[9:12], v4 offset1:2
	v_mov_b32_e32 v6, s6
	v_add_co_u32_e32 v5, vcc, s3, v2
	v_addc_co_u32_e32 v6, vcc, v6, v3, vcc
	v_lshlrev_b64 v[2:3], 3, v[13:14]
	s_lshl_b32 s3, s2, 7
	v_add_co_u32_e32 v2, vcc, v5, v2
	v_addc_co_u32_e32 v3, vcc, v6, v3, vcc
	v_add_u32_e32 v13, s3, v13
	s_waitcnt lgkmcnt(0)
	global_store_dwordx2 v[2:3], v[9:10], off
	v_lshlrev_b64 v[2:3], 3, v[13:14]
	v_add_u32_e32 v13, s3, v13
	v_add_co_u32_e32 v2, vcc, v5, v2
	v_addc_co_u32_e32 v3, vcc, v6, v3, vcc
	global_store_dwordx2 v[2:3], v[11:12], off
	ds_read2st64_b64 v[9:12], v4 offset0:4 offset1:6
	v_lshlrev_b64 v[2:3], 3, v[13:14]
	v_add_u32_e32 v13, s3, v13
	v_add_co_u32_e32 v2, vcc, v5, v2
	v_addc_co_u32_e32 v3, vcc, v6, v3, vcc
	s_waitcnt lgkmcnt(0)
	global_store_dwordx2 v[2:3], v[9:10], off
	v_lshlrev_b64 v[2:3], 3, v[13:14]
	s_mov_b32 s13, 0
	v_add_co_u32_e32 v2, vcc, v5, v2
	v_addc_co_u32_e32 v3, vcc, v6, v3, vcc
	v_cmp_gt_u32_e32 vcc, 4, v0
	s_mov_b64 s[14:15], 0
	s_mov_b64 s[6:7], 0
	global_store_dwordx2 v[2:3], v[11:12], off
                                        ; implicit-def: $vgpr2
                                        ; implicit-def: $vgpr3_vgpr4
	s_and_saveexec_b64 s[16:17], vcc
	s_cbranch_execz .LBB0_20
; %bb.19:
	ds_read_b64 v[1:2], v1 offset:4096
	s_lshl_b32 s12, s2, 9
	s_lshl_b64 s[12:13], s[12:13], 3
	v_mov_b32_e32 v4, s13
	v_add_co_u32_e32 v3, vcc, s12, v5
	s_mov_b64 s[6:7], exec
	v_addc_co_u32_e32 v4, vcc, v6, v4, vcc
	s_waitcnt lgkmcnt(0)
	global_store_dword v[3:4], v1, off
.LBB0_20:
	s_or_b64 exec, exec, s[16:17]
	s_and_b64 vcc, exec, s[14:15]
	s_cbranch_vccnz .LBB0_22
	s_branch .LBB0_27
.LBB0_21:
	s_mov_b64 s[6:7], 0
                                        ; implicit-def: $vgpr2
                                        ; implicit-def: $vgpr3_vgpr4
	s_cbranch_execz .LBB0_27
.LBB0_22:
	v_or_b32_e32 v1, s1, v8
	v_cmp_gt_u32_e32 vcc, s0, v1
                                        ; implicit-def: $vgpr2
                                        ; implicit-def: $vgpr3_vgpr4
	s_and_saveexec_b64 s[12:13], vcc
	s_cbranch_execz .LBB0_26
; %bb.23:
	v_mad_u64_u32 v[2:3], s[14:15], s8, v8, 0
	v_mul_lo_u32 v5, v7, s2
	s_movk_i32 s1, 0x1008
	v_mov_b32_e32 v1, v3
	v_mad_u64_u32 v[3:4], s[8:9], s9, v8, v[1:2]
	s_lshl_b64 s[8:9], s[10:11], 3
	v_mad_u32_u24 v1, v8, s1, 0
	s_add_u32 s1, s4, s8
	v_lshlrev_b64 v[2:3], 3, v[2:3]
	v_lshl_add_u32 v4, v7, 3, v1
	s_addc_u32 s3, s5, s9
	v_mov_b32_e32 v6, 0
	ds_read2st64_b64 v[9:12], v4 offset1:2
	v_mov_b32_e32 v8, s3
	v_add_co_u32_e32 v7, vcc, s1, v2
	v_addc_co_u32_e32 v8, vcc, v8, v3, vcc
	v_lshlrev_b64 v[2:3], 3, v[5:6]
	s_lshl_b32 s4, s2, 7
	v_add_co_u32_e32 v2, vcc, v7, v2
	v_addc_co_u32_e32 v3, vcc, v8, v3, vcc
	v_add_u32_e32 v5, s4, v5
	s_waitcnt lgkmcnt(0)
	global_store_dwordx2 v[2:3], v[9:10], off
	v_lshlrev_b64 v[2:3], 3, v[5:6]
	v_add_u32_e32 v5, s4, v5
	v_add_co_u32_e32 v2, vcc, v7, v2
	v_addc_co_u32_e32 v3, vcc, v8, v3, vcc
	global_store_dwordx2 v[2:3], v[11:12], off
	ds_read2st64_b64 v[9:12], v4 offset0:4 offset1:6
	v_lshlrev_b64 v[2:3], 3, v[5:6]
	v_add_u32_e32 v5, s4, v5
	v_add_co_u32_e32 v2, vcc, v7, v2
	v_addc_co_u32_e32 v3, vcc, v8, v3, vcc
	s_waitcnt lgkmcnt(0)
	global_store_dwordx2 v[2:3], v[9:10], off
	v_lshlrev_b64 v[2:3], 3, v[5:6]
	s_and_b32 s0, s0, 3
	v_add_co_u32_e32 v2, vcc, v7, v2
	v_addc_co_u32_e32 v3, vcc, v8, v3, vcc
	v_cmp_gt_u32_e32 vcc, s0, v0
	s_mov_b64 s[2:3], s[6:7]
	global_store_dwordx2 v[2:3], v[11:12], off
                                        ; implicit-def: $vgpr2
                                        ; implicit-def: $vgpr3_vgpr4
	s_and_saveexec_b64 s[0:1], vcc
	s_cbranch_execz .LBB0_25
; %bb.24:
	v_add_u32_e32 v5, s4, v5
	ds_read_b64 v[1:2], v1 offset:4096
	v_lshlrev_b64 v[3:4], 3, v[5:6]
	s_or_b64 s[2:3], s[6:7], exec
	v_add_co_u32_e32 v3, vcc, v7, v3
	v_addc_co_u32_e32 v4, vcc, v8, v4, vcc
	s_waitcnt lgkmcnt(0)
	global_store_dword v[3:4], v1, off
.LBB0_25:
	s_or_b64 exec, exec, s[0:1]
	s_andn2_b64 s[0:1], s[6:7], exec
	s_and_b64 s[2:3], s[2:3], exec
	s_or_b64 s[6:7], s[0:1], s[2:3]
.LBB0_26:
	s_or_b64 exec, exec, s[12:13]
.LBB0_27:
	s_and_saveexec_b64 s[0:1], s[6:7]
	s_cbranch_execnz .LBB0_29
; %bb.28:
	s_endpgm
.LBB0_29:
	global_store_dword v[3:4], v2, off offset:4
	s_endpgm
	.section	.rodata,"a",@progbits
	.p2align	6, 0x0
	.amdhsa_kernel fft_rtc_fwd_len512_factors_8_8_8_wgs_512_tpt_128_sp_op_CI_CI_sbrc_erc_z_xy_unaligned
		.amdhsa_group_segment_fixed_size 0
		.amdhsa_private_segment_fixed_size 0
		.amdhsa_kernarg_size 104
		.amdhsa_user_sgpr_count 6
		.amdhsa_user_sgpr_private_segment_buffer 1
		.amdhsa_user_sgpr_dispatch_ptr 0
		.amdhsa_user_sgpr_queue_ptr 0
		.amdhsa_user_sgpr_kernarg_segment_ptr 1
		.amdhsa_user_sgpr_dispatch_id 0
		.amdhsa_user_sgpr_flat_scratch_init 0
		.amdhsa_user_sgpr_private_segment_size 0
		.amdhsa_uses_dynamic_stack 0
		.amdhsa_system_sgpr_private_segment_wavefront_offset 0
		.amdhsa_system_sgpr_workgroup_id_x 1
		.amdhsa_system_sgpr_workgroup_id_y 0
		.amdhsa_system_sgpr_workgroup_id_z 0
		.amdhsa_system_sgpr_workgroup_info 0
		.amdhsa_system_vgpr_workitem_id 0
		.amdhsa_next_free_vgpr 31
		.amdhsa_next_free_sgpr 30
		.amdhsa_reserve_vcc 1
		.amdhsa_reserve_flat_scratch 0
		.amdhsa_float_round_mode_32 0
		.amdhsa_float_round_mode_16_64 0
		.amdhsa_float_denorm_mode_32 3
		.amdhsa_float_denorm_mode_16_64 3
		.amdhsa_dx10_clamp 1
		.amdhsa_ieee_mode 1
		.amdhsa_fp16_overflow 0
		.amdhsa_exception_fp_ieee_invalid_op 0
		.amdhsa_exception_fp_denorm_src 0
		.amdhsa_exception_fp_ieee_div_zero 0
		.amdhsa_exception_fp_ieee_overflow 0
		.amdhsa_exception_fp_ieee_underflow 0
		.amdhsa_exception_fp_ieee_inexact 0
		.amdhsa_exception_int_div_zero 0
	.end_amdhsa_kernel
	.text
.Lfunc_end0:
	.size	fft_rtc_fwd_len512_factors_8_8_8_wgs_512_tpt_128_sp_op_CI_CI_sbrc_erc_z_xy_unaligned, .Lfunc_end0-fft_rtc_fwd_len512_factors_8_8_8_wgs_512_tpt_128_sp_op_CI_CI_sbrc_erc_z_xy_unaligned
                                        ; -- End function
	.section	.AMDGPU.csdata,"",@progbits
; Kernel info:
; codeLenInByte = 3428
; NumSgprs: 34
; NumVgprs: 31
; ScratchSize: 0
; MemoryBound: 0
; FloatMode: 240
; IeeeMode: 1
; LDSByteSize: 0 bytes/workgroup (compile time only)
; SGPRBlocks: 4
; VGPRBlocks: 7
; NumSGPRsForWavesPerEU: 34
; NumVGPRsForWavesPerEU: 31
; Occupancy: 8
; WaveLimiterHint : 1
; COMPUTE_PGM_RSRC2:SCRATCH_EN: 0
; COMPUTE_PGM_RSRC2:USER_SGPR: 6
; COMPUTE_PGM_RSRC2:TRAP_HANDLER: 0
; COMPUTE_PGM_RSRC2:TGID_X_EN: 1
; COMPUTE_PGM_RSRC2:TGID_Y_EN: 0
; COMPUTE_PGM_RSRC2:TGID_Z_EN: 0
; COMPUTE_PGM_RSRC2:TIDIG_COMP_CNT: 0
	.type	__hip_cuid_771e6412208e3bc6,@object ; @__hip_cuid_771e6412208e3bc6
	.section	.bss,"aw",@nobits
	.globl	__hip_cuid_771e6412208e3bc6
__hip_cuid_771e6412208e3bc6:
	.byte	0                               ; 0x0
	.size	__hip_cuid_771e6412208e3bc6, 1

	.ident	"AMD clang version 19.0.0git (https://github.com/RadeonOpenCompute/llvm-project roc-6.4.0 25133 c7fe45cf4b819c5991fe208aaa96edf142730f1d)"
	.section	".note.GNU-stack","",@progbits
	.addrsig
	.addrsig_sym __hip_cuid_771e6412208e3bc6
	.amdgpu_metadata
---
amdhsa.kernels:
  - .args:
      - .actual_access:  read_only
        .address_space:  global
        .offset:         0
        .size:           8
        .value_kind:     global_buffer
      - .offset:         8
        .size:           8
        .value_kind:     by_value
      - .actual_access:  read_only
        .address_space:  global
        .offset:         16
        .size:           8
        .value_kind:     global_buffer
      - .actual_access:  read_only
        .address_space:  global
        .offset:         24
        .size:           8
        .value_kind:     global_buffer
      - .actual_access:  read_only
        .address_space:  global
        .offset:         32
        .size:           8
        .value_kind:     global_buffer
      - .offset:         40
        .size:           8
        .value_kind:     by_value
      - .actual_access:  read_only
        .address_space:  global
        .offset:         48
        .size:           8
        .value_kind:     global_buffer
      - .actual_access:  read_only
        .address_space:  global
        .offset:         56
        .size:           8
        .value_kind:     global_buffer
      - .offset:         64
        .size:           4
        .value_kind:     by_value
      - .actual_access:  read_only
        .address_space:  global
        .offset:         72
        .size:           8
        .value_kind:     global_buffer
      - .actual_access:  read_only
        .address_space:  global
        .offset:         80
        .size:           8
        .value_kind:     global_buffer
      - .actual_access:  read_only
        .address_space:  global
        .offset:         88
        .size:           8
        .value_kind:     global_buffer
      - .actual_access:  write_only
        .address_space:  global
        .offset:         96
        .size:           8
        .value_kind:     global_buffer
    .group_segment_fixed_size: 0
    .kernarg_segment_align: 8
    .kernarg_segment_size: 104
    .language:       OpenCL C
    .language_version:
      - 2
      - 0
    .max_flat_workgroup_size: 512
    .name:           fft_rtc_fwd_len512_factors_8_8_8_wgs_512_tpt_128_sp_op_CI_CI_sbrc_erc_z_xy_unaligned
    .private_segment_fixed_size: 0
    .sgpr_count:     34
    .sgpr_spill_count: 0
    .symbol:         fft_rtc_fwd_len512_factors_8_8_8_wgs_512_tpt_128_sp_op_CI_CI_sbrc_erc_z_xy_unaligned.kd
    .uniform_work_group_size: 1
    .uses_dynamic_stack: false
    .vgpr_count:     31
    .vgpr_spill_count: 0
    .wavefront_size: 64
amdhsa.target:   amdgcn-amd-amdhsa--gfx906
amdhsa.version:
  - 1
  - 2
...

	.end_amdgpu_metadata
